;; amdgpu-corpus repo=ROCm/rocFFT kind=compiled arch=gfx906 opt=O3
	.text
	.amdgcn_target "amdgcn-amd-amdhsa--gfx906"
	.amdhsa_code_object_version 6
	.protected	bluestein_single_back_len72_dim1_dp_op_CI_CI ; -- Begin function bluestein_single_back_len72_dim1_dp_op_CI_CI
	.globl	bluestein_single_back_len72_dim1_dp_op_CI_CI
	.p2align	8
	.type	bluestein_single_back_len72_dim1_dp_op_CI_CI,@function
bluestein_single_back_len72_dim1_dp_op_CI_CI: ; @bluestein_single_back_len72_dim1_dp_op_CI_CI
; %bb.0:
	v_mul_u32_u24_e32 v1, 0x1c72, v0
	s_load_dwordx4 s[16:19], s[4:5], 0x28
	v_lshrrev_b32_e32 v1, 16, v1
	v_mad_u64_u32 v[116:117], s[0:1], s6, 7, v[1:2]
	v_mov_b32_e32 v117, 0
	s_waitcnt lgkmcnt(0)
	v_cmp_gt_u64_e32 vcc, s[16:17], v[116:117]
	s_and_saveexec_b64 s[0:1], vcc
	s_cbranch_execz .LBB0_18
; %bb.1:
	s_load_dwordx4 s[0:3], s[4:5], 0x18
	s_load_dwordx4 s[12:15], s[4:5], 0x0
	v_mul_lo_u16_e32 v1, 9, v1
	v_sub_u16_e32 v119, v0, v1
	v_lshlrev_b32_e32 v123, 4, v119
	s_waitcnt lgkmcnt(0)
	s_load_dwordx4 s[8:11], s[0:1], 0x0
	s_waitcnt lgkmcnt(0)
	v_mad_u64_u32 v[0:1], s[0:1], s10, v116, 0
	v_mad_u64_u32 v[2:3], s[0:1], s8, v119, 0
	;; [unrolled: 1-line block ×4, first 2 shown]
	v_mov_b32_e32 v1, v4
	v_lshlrev_b64 v[0:1], 4, v[0:1]
	v_mov_b32_e32 v6, s19
	v_mov_b32_e32 v3, v5
	v_add_co_u32_e32 v4, vcc, s18, v0
	v_addc_co_u32_e32 v5, vcc, v6, v1, vcc
	v_lshlrev_b64 v[0:1], 4, v[2:3]
	s_mul_i32 s0, s9, 0x90
	v_add_co_u32_e32 v0, vcc, v4, v0
	s_mul_hi_u32 s1, s8, 0x90
	v_addc_co_u32_e32 v1, vcc, v5, v1, vcc
	s_add_i32 s0, s1, s0
	s_mul_i32 s1, s8, 0x90
	v_mov_b32_e32 v3, s0
	v_add_co_u32_e32 v2, vcc, s1, v0
	v_addc_co_u32_e32 v3, vcc, v1, v3, vcc
	global_load_dwordx4 v[32:35], v[0:1], off
	global_load_dwordx4 v[36:39], v[2:3], off
	global_load_dwordx4 v[28:31], v123, s[12:13]
	global_load_dwordx4 v[24:27], v123, s[12:13] offset:144
	v_mov_b32_e32 v0, s0
	v_add_co_u32_e32 v8, vcc, s1, v2
	v_addc_co_u32_e32 v9, vcc, v3, v0, vcc
	v_add_co_u32_e32 v10, vcc, s1, v8
	v_addc_co_u32_e32 v11, vcc, v9, v0, vcc
	global_load_dwordx4 v[40:43], v[8:9], off
	global_load_dwordx4 v[44:47], v[10:11], off
	global_load_dwordx4 v[4:7], v123, s[12:13] offset:288
	global_load_dwordx4 v[0:3], v123, s[12:13] offset:432
	v_mov_b32_e32 v9, s0
	v_add_co_u32_e32 v8, vcc, s1, v10
	v_addc_co_u32_e32 v9, vcc, v11, v9, vcc
	v_mov_b32_e32 v10, s0
	v_add_co_u32_e32 v16, vcc, s1, v8
	v_addc_co_u32_e32 v17, vcc, v9, v10, vcc
	global_load_dwordx4 v[48:51], v[8:9], off
	global_load_dwordx4 v[52:55], v[16:17], off
	global_load_dwordx4 v[12:15], v123, s[12:13] offset:576
	s_nop 0
	global_load_dwordx4 v[8:11], v123, s[12:13] offset:720
	v_mov_b32_e32 v18, s0
	v_add_co_u32_e32 v16, vcc, s1, v16
	v_addc_co_u32_e32 v17, vcc, v17, v18, vcc
	global_load_dwordx4 v[56:59], v[16:17], off
	v_add_co_u32_e32 v64, vcc, s1, v16
	v_addc_co_u32_e32 v65, vcc, v17, v18, vcc
	global_load_dwordx4 v[16:19], v123, s[12:13] offset:864
	global_load_dwordx4 v[20:23], v123, s[12:13] offset:1008
	global_load_dwordx4 v[60:63], v[64:65], off
	s_mov_b32 s0, 0x24924925
	v_mul_hi_u32 v64, v116, s0
	s_load_dwordx2 s[6:7], s[4:5], 0x38
	s_load_dwordx4 s[8:11], s[2:3], 0x0
	s_mov_b32 s0, 0x667f3bcd
	s_mov_b32 s1, 0xbfe6a09e
	v_sub_u32_e32 v65, v116, v64
	v_lshrrev_b32_e32 v65, 1, v65
	v_add_u32_e32 v64, v65, v64
	v_lshrrev_b32_e32 v64, 2, v64
	v_mul_lo_u32 v64, v64, 7
	s_mov_b32 s3, 0x3fe6a09e
	s_mov_b32 s2, s0
	v_cmp_gt_u16_e32 vcc, 6, v119
	v_sub_u32_e32 v64, v116, v64
	v_mul_u32_u24_e32 v64, 0x48, v64
	v_lshlrev_b32_e32 v121, 4, v64
	v_add_u32_e32 v120, v123, v121
	s_waitcnt vmcnt(13)
	v_mul_f64 v[64:65], v[34:35], v[30:31]
	v_mul_f64 v[66:67], v[32:33], v[30:31]
	s_waitcnt vmcnt(12)
	v_mul_f64 v[68:69], v[38:39], v[26:27]
	v_mul_f64 v[70:71], v[36:37], v[26:27]
	v_fma_f64 v[32:33], v[32:33], v[28:29], v[64:65]
	v_fma_f64 v[34:35], v[34:35], v[28:29], -v[66:67]
	s_waitcnt vmcnt(9)
	v_mul_f64 v[72:73], v[42:43], v[6:7]
	v_mul_f64 v[74:75], v[40:41], v[6:7]
	s_waitcnt vmcnt(8)
	v_mul_f64 v[76:77], v[46:47], v[2:3]
	v_mul_f64 v[78:79], v[44:45], v[2:3]
	v_fma_f64 v[36:37], v[36:37], v[24:25], v[68:69]
	v_fma_f64 v[38:39], v[38:39], v[24:25], -v[70:71]
	v_fma_f64 v[40:41], v[40:41], v[4:5], v[72:73]
	v_fma_f64 v[42:43], v[42:43], v[4:5], -v[74:75]
	;; [unrolled: 2-line block ×3, first 2 shown]
	s_waitcnt vmcnt(5)
	v_mul_f64 v[80:81], v[50:51], v[14:15]
	v_mul_f64 v[82:83], v[48:49], v[14:15]
	s_waitcnt vmcnt(4)
	v_mul_f64 v[84:85], v[54:55], v[10:11]
	v_mul_f64 v[64:65], v[52:53], v[10:11]
	v_fma_f64 v[48:49], v[48:49], v[12:13], v[80:81]
	v_fma_f64 v[50:51], v[50:51], v[12:13], -v[82:83]
	s_waitcnt vmcnt(2)
	v_mul_f64 v[66:67], v[58:59], v[18:19]
	v_mul_f64 v[68:69], v[56:57], v[18:19]
	s_waitcnt vmcnt(0)
	v_mul_f64 v[70:71], v[62:63], v[22:23]
	v_mul_f64 v[72:73], v[60:61], v[22:23]
	v_fma_f64 v[52:53], v[52:53], v[8:9], v[84:85]
	v_fma_f64 v[54:55], v[54:55], v[8:9], -v[64:65]
	v_fma_f64 v[56:57], v[56:57], v[16:17], v[66:67]
	v_fma_f64 v[58:59], v[58:59], v[16:17], -v[68:69]
	;; [unrolled: 2-line block ×3, first 2 shown]
	ds_write_b128 v120, v[32:35]
	ds_write_b128 v120, v[36:39] offset:144
	ds_write_b128 v120, v[40:43] offset:288
	;; [unrolled: 1-line block ×7, first 2 shown]
	s_waitcnt lgkmcnt(0)
	; wave barrier
	s_waitcnt lgkmcnt(0)
	ds_read_b128 v[32:35], v120
	ds_read_b128 v[36:39], v120 offset:144
	ds_read_b128 v[40:43], v120 offset:576
	;; [unrolled: 1-line block ×7, first 2 shown]
	s_waitcnt lgkmcnt(5)
	v_add_f64 v[40:41], v[32:33], -v[40:41]
	v_add_f64 v[42:43], v[34:35], -v[42:43]
	s_waitcnt lgkmcnt(2)
	v_add_f64 v[52:53], v[44:45], -v[52:53]
	v_add_f64 v[54:55], v[46:47], -v[54:55]
	;; [unrolled: 3-line block ×4, first 2 shown]
	v_fma_f64 v[32:33], v[32:33], 2.0, -v[40:41]
	v_fma_f64 v[34:35], v[34:35], 2.0, -v[42:43]
	;; [unrolled: 1-line block ×8, first 2 shown]
	v_add_f64 v[54:55], v[40:41], -v[54:55]
	v_add_f64 v[64:65], v[42:43], v[52:53]
	v_add_f64 v[52:53], v[56:57], -v[62:63]
	v_add_f64 v[60:61], v[58:59], v[60:61]
	v_add_f64 v[62:63], v[32:33], -v[44:45]
	v_add_f64 v[66:67], v[34:35], -v[46:47]
	;; [unrolled: 1-line block ×4, first 2 shown]
	v_fma_f64 v[48:49], v[40:41], 2.0, -v[54:55]
	v_fma_f64 v[50:51], v[42:43], 2.0, -v[64:65]
	;; [unrolled: 1-line block ×8, first 2 shown]
	v_fma_f64 v[68:69], v[52:53], s[2:3], v[54:55]
	v_fma_f64 v[70:71], v[60:61], s[2:3], v[64:65]
	;; [unrolled: 1-line block ×4, first 2 shown]
	v_add_f64 v[56:57], v[62:63], -v[46:47]
	v_add_f64 v[58:59], v[66:67], v[44:45]
	v_add_f64 v[32:33], v[72:73], -v[32:33]
	v_add_f64 v[34:35], v[74:75], -v[34:35]
	v_fma_f64 v[68:69], v[60:61], s[0:1], v[68:69]
	v_fma_f64 v[70:71], v[52:53], s[2:3], v[70:71]
	;; [unrolled: 1-line block ×4, first 2 shown]
	v_lshlrev_b16_e32 v60, 3, v119
	v_lshl_add_u32 v124, v60, 4, v121
	v_fma_f64 v[40:41], v[72:73], 2.0, -v[32:33]
	v_fma_f64 v[42:43], v[74:75], 2.0, -v[34:35]
	;; [unrolled: 1-line block ×8, first 2 shown]
	s_waitcnt lgkmcnt(0)
	; wave barrier
	ds_write_b128 v124, v[40:43]
	ds_write_b128 v124, v[44:47] offset:16
	ds_write_b128 v124, v[48:51] offset:32
	;; [unrolled: 1-line block ×7, first 2 shown]
	s_waitcnt lgkmcnt(0)
	; wave barrier
	s_waitcnt lgkmcnt(0)
	ds_read_b128 v[64:67], v120
	ds_read_b128 v[60:63], v120 offset:144
	ds_read_b128 v[44:47], v120 offset:384
	;; [unrolled: 1-line block ×5, first 2 shown]
                                        ; implicit-def: $vgpr72_vgpr73
	s_and_saveexec_b64 s[0:1], vcc
	s_cbranch_execz .LBB0_3
; %bb.2:
	ds_read_b128 v[56:59], v120 offset:288
	ds_read_b128 v[68:71], v120 offset:672
	;; [unrolled: 1-line block ×3, first 2 shown]
.LBB0_3:
	s_or_b64 exec, exec, s[0:1]
	v_and_b32_e32 v108, 7, v119
	v_lshlrev_b32_e32 v78, 5, v108
	global_load_dwordx4 v[32:35], v78, s[14:15] offset:16
	global_load_dwordx4 v[36:39], v78, s[14:15]
	v_add_co_u32_e64 v76, s[0:1], 9, v119
	v_and_b32_e32 v109, 7, v76
	v_lshlrev_b32_e32 v86, 5, v109
	v_add_co_u32_e64 v122, s[0:1], 18, v119
	v_and_b32_e32 v110, 7, v122
	v_lshlrev_b32_e32 v92, 5, v110
	v_addc_co_u32_e64 v126, s[0:1], 0, 0, s[0:1]
	s_mov_b32 s0, 0xe8584caa
	s_mov_b32 s1, 0x3febb67a
	;; [unrolled: 1-line block ×4, first 2 shown]
	v_mov_b32_e32 v77, s13
	v_lshl_add_u32 v128, v110, 4, v121
	s_waitcnt vmcnt(0) lgkmcnt(3)
	v_mul_f64 v[78:79], v[46:47], v[38:39]
	v_fma_f64 v[78:79], v[44:45], v[36:37], -v[78:79]
	v_mul_f64 v[44:45], v[44:45], v[38:39]
	v_fma_f64 v[80:81], v[46:47], v[36:37], v[44:45]
	s_waitcnt lgkmcnt(1)
	v_mul_f64 v[44:45], v[42:43], v[34:35]
	v_fma_f64 v[82:83], v[40:41], v[32:33], -v[44:45]
	v_mul_f64 v[40:41], v[40:41], v[34:35]
	v_fma_f64 v[84:85], v[42:43], v[32:33], v[40:41]
	global_load_dwordx4 v[40:43], v86, s[14:15] offset:16
	global_load_dwordx4 v[44:47], v86, s[14:15]
	s_waitcnt vmcnt(0)
	v_mul_f64 v[86:87], v[54:55], v[46:47]
	v_fma_f64 v[86:87], v[52:53], v[44:45], -v[86:87]
	v_mul_f64 v[52:53], v[52:53], v[46:47]
	v_fma_f64 v[88:89], v[54:55], v[44:45], v[52:53]
	s_waitcnt lgkmcnt(0)
	v_mul_f64 v[52:53], v[50:51], v[42:43]
	v_fma_f64 v[90:91], v[48:49], v[40:41], -v[52:53]
	v_mul_f64 v[48:49], v[48:49], v[42:43]
	v_fma_f64 v[98:99], v[50:51], v[40:41], v[48:49]
	global_load_dwordx4 v[48:51], v92, s[14:15] offset:16
	global_load_dwordx4 v[52:55], v92, s[14:15]
	s_waitcnt lgkmcnt(0)
	; wave barrier
	s_waitcnt vmcnt(0)
	v_mul_f64 v[92:93], v[70:71], v[54:55]
	v_fma_f64 v[100:101], v[68:69], v[52:53], -v[92:93]
	v_mul_f64 v[68:69], v[68:69], v[54:55]
	v_fma_f64 v[102:103], v[70:71], v[52:53], v[68:69]
	v_mul_f64 v[68:69], v[74:75], v[50:51]
	v_add_f64 v[70:71], v[78:79], v[82:83]
	v_fma_f64 v[104:105], v[72:73], v[48:49], -v[68:69]
	v_mul_f64 v[68:69], v[72:73], v[50:51]
	v_fma_f64 v[70:71], v[70:71], -0.5, v[64:65]
	v_add_f64 v[72:73], v[80:81], -v[84:85]
	v_fma_f64 v[106:107], v[74:75], v[48:49], v[68:69]
	v_add_f64 v[74:75], v[80:81], v[84:85]
	v_add_f64 v[68:69], v[64:65], v[78:79]
	v_add_f64 v[78:79], v[78:79], -v[82:83]
	v_fma_f64 v[64:65], v[72:73], s[0:1], v[70:71]
	v_fma_f64 v[72:73], v[72:73], s[2:3], v[70:71]
	v_add_f64 v[70:71], v[66:67], v[80:81]
	v_add_f64 v[80:81], v[88:89], -v[98:99]
	v_fma_f64 v[74:75], v[74:75], -0.5, v[66:67]
	v_add_f64 v[68:69], v[68:69], v[82:83]
	v_add_f64 v[70:71], v[70:71], v[84:85]
	v_fma_f64 v[66:67], v[78:79], s[2:3], v[74:75]
	v_fma_f64 v[74:75], v[78:79], s[0:1], v[74:75]
	v_add_f64 v[78:79], v[60:61], v[86:87]
	v_add_f64 v[92:93], v[78:79], v[90:91]
	;; [unrolled: 1-line block ×3, first 2 shown]
	v_fma_f64 v[78:79], v[78:79], -0.5, v[60:61]
	v_fma_f64 v[60:61], v[80:81], s[0:1], v[78:79]
	v_fma_f64 v[96:97], v[80:81], s[2:3], v[78:79]
	v_add_f64 v[78:79], v[62:63], v[88:89]
	v_add_f64 v[80:81], v[86:87], -v[90:91]
	v_add_f64 v[94:95], v[78:79], v[98:99]
	v_add_f64 v[78:79], v[88:89], v[98:99]
	v_fma_f64 v[78:79], v[78:79], -0.5, v[62:63]
	v_fma_f64 v[62:63], v[80:81], s[2:3], v[78:79]
	v_fma_f64 v[98:99], v[80:81], s[0:1], v[78:79]
	v_add_f64 v[78:79], v[56:57], v[100:101]
	v_add_f64 v[84:85], v[78:79], v[104:105]
	;; [unrolled: 1-line block ×3, first 2 shown]
	v_fma_f64 v[56:57], v[78:79], -0.5, v[56:57]
	v_add_f64 v[78:79], v[102:103], -v[106:107]
	v_fma_f64 v[80:81], v[78:79], s[0:1], v[56:57]
	v_fma_f64 v[88:89], v[78:79], s[2:3], v[56:57]
	v_add_f64 v[56:57], v[58:59], v[102:103]
	v_add_f64 v[86:87], v[56:57], v[106:107]
	;; [unrolled: 1-line block ×3, first 2 shown]
	v_fma_f64 v[56:57], v[56:57], -0.5, v[58:59]
	v_add_f64 v[58:59], v[100:101], -v[104:105]
	v_fma_f64 v[82:83], v[58:59], s[2:3], v[56:57]
	v_fma_f64 v[90:91], v[58:59], s[0:1], v[56:57]
	v_lshrrev_b32_e32 v56, 3, v119
	v_mul_u32_u24_e32 v56, 24, v56
	v_or_b32_e32 v56, v56, v108
	v_lshl_add_u32 v125, v56, 4, v121
	v_lshrrev_b32_e32 v56, 3, v76
	v_mul_u32_u24_e32 v56, 24, v56
	v_or_b32_e32 v56, v56, v109
	v_lshl_add_u32 v127, v56, 4, v121
	ds_write_b128 v125, v[68:71]
	ds_write_b128 v125, v[64:67] offset:128
	ds_write_b128 v125, v[72:75] offset:256
	ds_write_b128 v127, v[92:95]
	ds_write_b128 v127, v[60:63] offset:128
	ds_write_b128 v127, v[96:99] offset:256
	s_and_saveexec_b64 s[0:1], vcc
	s_cbranch_execz .LBB0_5
; %bb.4:
	v_mov_b32_e32 v56, 0x380
	v_lshl_or_b32 v56, v122, 4, v56
	v_add_u32_e32 v56, v121, v56
	ds_write_b128 v128, v[84:87] offset:768
	ds_write_b128 v56, v[80:83]
	ds_write_b128 v128, v[88:91] offset:1024
.LBB0_5:
	s_or_b64 exec, exec, s[0:1]
	s_waitcnt lgkmcnt(0)
	; wave barrier
	s_waitcnt lgkmcnt(0)
	ds_read_b128 v[96:99], v120
	ds_read_b128 v[92:95], v120 offset:144
	ds_read_b128 v[108:111], v120 offset:384
	;; [unrolled: 1-line block ×5, first 2 shown]
	v_add_co_u32_e64 v117, s[0:1], s12, v123
	v_addc_co_u32_e64 v118, s[0:1], 0, v77, s[0:1]
	s_and_saveexec_b64 s[0:1], vcc
	s_cbranch_execz .LBB0_7
; %bb.6:
	ds_read_b128 v[84:87], v120 offset:288
	ds_read_b128 v[80:83], v120 offset:672
	;; [unrolled: 1-line block ×3, first 2 shown]
.LBB0_7:
	s_or_b64 exec, exec, s[0:1]
	v_lshlrev_b32_e32 v56, 5, v119
	global_load_dwordx4 v[64:67], v56, s[14:15] offset:272
	global_load_dwordx4 v[68:71], v56, s[14:15] offset:256
	v_lshlrev_b32_e32 v56, 5, v76
	global_load_dwordx4 v[72:75], v56, s[14:15] offset:272
	global_load_dwordx4 v[76:79], v56, s[14:15] offset:256
	v_add_co_u32_e64 v56, s[0:1], -6, v119
	v_addc_co_u32_e64 v57, s[0:1], 0, -1, s[0:1]
	v_cndmask_b32_e32 v57, v57, v126, vcc
	v_cndmask_b32_e32 v56, v56, v122, vcc
	v_lshlrev_b64 v[56:57], 5, v[56:57]
	v_mov_b32_e32 v58, s15
	v_add_co_u32_e64 v56, s[0:1], s14, v56
	v_addc_co_u32_e64 v57, s[0:1], v58, v57, s[0:1]
	global_load_dwordx4 v[60:63], v[56:57], off offset:256
	s_nop 0
	global_load_dwordx4 v[56:59], v[56:57], off offset:272
	s_mov_b32 s0, 0xe8584caa
	s_mov_b32 s1, 0x3febb67a
	;; [unrolled: 1-line block ×3, first 2 shown]
	v_lshl_add_u32 v126, v119, 4, v121
	s_waitcnt vmcnt(5) lgkmcnt(1)
	v_mul_f64 v[133:134], v[114:115], v[66:67]
	s_waitcnt vmcnt(4)
	v_mul_f64 v[129:130], v[110:111], v[70:71]
	v_mul_f64 v[131:132], v[108:109], v[70:71]
	;; [unrolled: 1-line block ×3, first 2 shown]
	s_waitcnt vmcnt(2)
	v_mul_f64 v[137:138], v[102:103], v[78:79]
	v_mul_f64 v[139:140], v[100:101], v[78:79]
	s_waitcnt lgkmcnt(0)
	v_mul_f64 v[141:142], v[106:107], v[74:75]
	v_mul_f64 v[143:144], v[104:105], v[74:75]
	v_fma_f64 v[112:113], v[112:113], v[64:65], -v[133:134]
	v_fma_f64 v[108:109], v[108:109], v[68:69], -v[129:130]
	v_fma_f64 v[110:111], v[110:111], v[68:69], v[131:132]
	v_fma_f64 v[114:115], v[114:115], v[64:65], v[135:136]
	v_fma_f64 v[129:130], v[100:101], v[76:77], -v[137:138]
	v_fma_f64 v[131:132], v[102:103], v[76:77], v[139:140]
	v_fma_f64 v[133:134], v[104:105], v[72:73], -v[141:142]
	s_waitcnt vmcnt(1)
	v_mul_f64 v[145:146], v[82:83], v[62:63]
	v_mul_f64 v[147:148], v[80:81], v[62:63]
	s_waitcnt vmcnt(0)
	v_mul_f64 v[149:150], v[90:91], v[58:59]
	v_mul_f64 v[151:152], v[88:89], v[58:59]
	v_fma_f64 v[135:136], v[106:107], v[72:73], v[143:144]
	v_add_f64 v[139:140], v[98:99], v[110:111]
	v_add_f64 v[141:142], v[110:111], v[114:115]
	v_add_f64 v[153:154], v[129:130], -v[133:134]
	v_fma_f64 v[100:101], v[80:81], v[60:61], -v[145:146]
	v_fma_f64 v[102:103], v[82:83], v[60:61], v[147:148]
	v_fma_f64 v[88:89], v[88:89], v[56:57], -v[149:150]
	v_fma_f64 v[90:91], v[90:91], v[56:57], v[151:152]
	v_add_f64 v[80:81], v[96:97], v[108:109]
	v_add_f64 v[82:83], v[108:109], v[112:113]
	;; [unrolled: 1-line block ×4, first 2 shown]
	v_add_f64 v[149:150], v[131:132], -v[135:136]
	v_add_f64 v[151:152], v[94:95], v[131:132]
	v_add_f64 v[131:132], v[131:132], v[135:136]
	;; [unrolled: 1-line block ×4, first 2 shown]
	v_add_f64 v[137:138], v[110:111], -v[114:115]
	v_add_f64 v[143:144], v[108:109], -v[112:113]
	;; [unrolled: 1-line block ×4, first 2 shown]
	v_add_f64 v[108:109], v[80:81], v[112:113]
	v_fma_f64 v[80:81], v[82:83], -0.5, v[96:97]
	v_add_f64 v[110:111], v[139:140], v[114:115]
	v_fma_f64 v[82:83], v[141:142], -0.5, v[98:99]
	v_fma_f64 v[139:140], v[147:148], -0.5, v[92:93]
	;; [unrolled: 1-line block ×5, first 2 shown]
	v_add_f64 v[96:97], v[145:146], v[133:134]
	v_fma_f64 v[112:113], v[137:138], s[0:1], v[80:81]
	v_fma_f64 v[129:130], v[137:138], s[2:3], v[80:81]
	;; [unrolled: 1-line block ×4, first 2 shown]
	v_add_f64 v[98:99], v[151:152], v[135:136]
	v_fma_f64 v[80:81], v[104:105], s[2:3], v[92:93]
	v_fma_f64 v[82:83], v[106:107], s[0:1], v[94:95]
	;; [unrolled: 1-line block ×6, first 2 shown]
	ds_write_b128 v120, v[108:111]
	ds_write_b128 v126, v[112:115] offset:384
	ds_write_b128 v126, v[129:132] offset:768
	;; [unrolled: 1-line block ×5, first 2 shown]
	s_and_saveexec_b64 s[2:3], vcc
	s_cbranch_execz .LBB0_9
; %bb.8:
	v_add_f64 v[98:99], v[86:87], v[102:103]
	v_add_f64 v[84:85], v[84:85], v[100:101]
	v_mul_f64 v[96:97], v[106:107], s[0:1]
	v_mul_f64 v[100:101], v[104:105], s[0:1]
	v_add_f64 v[90:91], v[98:99], v[90:91]
	v_add_f64 v[88:89], v[84:85], v[88:89]
	v_add_f64 v[86:87], v[94:95], -v[96:97]
	v_add_f64 v[84:85], v[100:101], v[92:93]
	ds_write_b128 v120, v[88:91] offset:288
	ds_write_b128 v126, v[84:87] offset:672
	;; [unrolled: 1-line block ×3, first 2 shown]
.LBB0_9:
	s_or_b64 exec, exec, s[2:3]
	s_waitcnt lgkmcnt(0)
	; wave barrier
	s_waitcnt lgkmcnt(0)
	global_load_dwordx4 v[84:87], v[117:118], off offset:1152
	s_add_u32 s0, s12, 0x480
	s_addc_u32 s1, s13, 0
	global_load_dwordx4 v[88:91], v123, s[0:1] offset:144
	global_load_dwordx4 v[92:95], v123, s[0:1] offset:288
	;; [unrolled: 1-line block ×7, first 2 shown]
	ds_read_b128 v[129:132], v120
	ds_read_b128 v[133:136], v120 offset:144
	ds_read_b128 v[137:140], v126 offset:288
	;; [unrolled: 1-line block ×7, first 2 shown]
	s_mov_b32 s0, 0x667f3bcd
	s_mov_b32 s1, 0xbfe6a09e
	;; [unrolled: 1-line block ×4, first 2 shown]
	s_waitcnt vmcnt(6) lgkmcnt(6)
	v_mul_f64 v[161:162], v[135:136], v[90:91]
	v_mul_f64 v[90:91], v[133:134], v[90:91]
	s_waitcnt vmcnt(5) lgkmcnt(5)
	v_mul_f64 v[163:164], v[139:140], v[94:95]
	v_mul_f64 v[117:118], v[131:132], v[86:87]
	;; [unrolled: 1-line block ×4, first 2 shown]
	s_waitcnt vmcnt(4) lgkmcnt(4)
	v_mul_f64 v[165:166], v[143:144], v[98:99]
	v_mul_f64 v[98:99], v[141:142], v[98:99]
	s_waitcnt vmcnt(3) lgkmcnt(3)
	v_mul_f64 v[167:168], v[147:148], v[102:103]
	v_mul_f64 v[102:103], v[145:146], v[102:103]
	;; [unrolled: 3-line block ×5, first 2 shown]
	v_fma_f64 v[129:130], v[129:130], v[84:85], -v[117:118]
	v_fma_f64 v[131:132], v[131:132], v[84:85], v[86:87]
	v_fma_f64 v[84:85], v[133:134], v[88:89], -v[161:162]
	v_fma_f64 v[86:87], v[135:136], v[88:89], v[90:91]
	;; [unrolled: 2-line block ×8, first 2 shown]
	ds_write_b128 v120, v[129:132]
	ds_write_b128 v120, v[84:87] offset:144
	ds_write_b128 v126, v[88:91] offset:288
	;; [unrolled: 1-line block ×7, first 2 shown]
	s_waitcnt lgkmcnt(0)
	; wave barrier
	s_waitcnt lgkmcnt(0)
	ds_read_b128 v[84:87], v120
	ds_read_b128 v[88:91], v120 offset:144
	ds_read_b128 v[92:95], v120 offset:432
	;; [unrolled: 1-line block ×7, first 2 shown]
	s_waitcnt lgkmcnt(4)
	v_add_f64 v[96:97], v[84:85], -v[96:97]
	v_add_f64 v[98:99], v[86:87], -v[98:99]
	s_waitcnt lgkmcnt(3)
	v_add_f64 v[100:101], v[88:89], -v[100:101]
	s_waitcnt lgkmcnt(1)
	v_add_f64 v[104:105], v[108:109], -v[104:105]
	v_add_f64 v[106:107], v[110:111], -v[106:107]
	;; [unrolled: 1-line block ×3, first 2 shown]
	s_waitcnt lgkmcnt(0)
	v_add_f64 v[112:113], v[92:93], -v[112:113]
	v_add_f64 v[114:115], v[94:95], -v[114:115]
	v_fma_f64 v[84:85], v[84:85], 2.0, -v[96:97]
	v_fma_f64 v[86:87], v[86:87], 2.0, -v[98:99]
	;; [unrolled: 1-line block ×8, first 2 shown]
	v_add_f64 v[106:107], v[96:97], v[106:107]
	v_add_f64 v[117:118], v[98:99], -v[104:105]
	v_add_f64 v[104:105], v[100:101], v[114:115]
	v_add_f64 v[112:113], v[102:103], -v[112:113]
	v_add_f64 v[108:109], v[84:85], -v[108:109]
	;; [unrolled: 1-line block ×5, first 2 shown]
	v_fma_f64 v[114:115], v[96:97], 2.0, -v[106:107]
	v_fma_f64 v[129:130], v[98:99], 2.0, -v[117:118]
	;; [unrolled: 1-line block ×4, first 2 shown]
	v_fma_f64 v[100:101], v[104:105], s[2:3], v[106:107]
	v_fma_f64 v[102:103], v[112:113], s[2:3], v[117:118]
	v_fma_f64 v[131:132], v[84:85], 2.0, -v[108:109]
	v_fma_f64 v[133:134], v[86:87], 2.0, -v[110:111]
	;; [unrolled: 1-line block ×4, first 2 shown]
	v_fma_f64 v[135:136], v[98:99], s[0:1], v[114:115]
	v_fma_f64 v[137:138], v[96:97], s[0:1], v[129:130]
	v_add_f64 v[84:85], v[108:109], v[94:95]
	v_add_f64 v[86:87], v[110:111], -v[92:93]
	v_fma_f64 v[92:93], v[112:113], s[2:3], v[100:101]
	v_fma_f64 v[94:95], v[104:105], s[0:1], v[102:103]
	v_add_f64 v[88:89], v[131:132], -v[88:89]
	v_add_f64 v[90:91], v[133:134], -v[90:91]
	v_fma_f64 v[96:97], v[96:97], s[2:3], v[135:136]
	v_fma_f64 v[98:99], v[98:99], s[0:1], v[137:138]
	v_fma_f64 v[100:101], v[108:109], 2.0, -v[84:85]
	v_fma_f64 v[102:103], v[110:111], 2.0, -v[86:87]
	;; [unrolled: 1-line block ×8, first 2 shown]
	s_waitcnt lgkmcnt(0)
	; wave barrier
	ds_write_b128 v124, v[84:87] offset:96
	ds_write_b128 v124, v[92:95] offset:112
	;; [unrolled: 1-line block ×6, first 2 shown]
	ds_write_b128 v124, v[108:111]
	ds_write_b128 v124, v[112:115] offset:16
	s_waitcnt lgkmcnt(0)
	; wave barrier
	s_waitcnt lgkmcnt(0)
	ds_read_b128 v[96:99], v120
	ds_read_b128 v[88:91], v120 offset:144
	ds_read_b128 v[108:111], v120 offset:384
	;; [unrolled: 1-line block ×5, first 2 shown]
	s_and_saveexec_b64 s[0:1], vcc
	s_cbranch_execz .LBB0_11
; %bb.10:
	ds_read_b128 v[84:87], v126 offset:288
	ds_read_b128 v[92:95], v120 offset:672
	ds_read_b128 v[80:83], v120 offset:1056
.LBB0_11:
	s_or_b64 exec, exec, s[0:1]
	s_waitcnt lgkmcnt(3)
	v_mul_f64 v[117:118], v[38:39], v[110:111]
	s_waitcnt lgkmcnt(1)
	v_mul_f64 v[123:124], v[34:35], v[114:115]
	v_mul_f64 v[38:39], v[38:39], v[108:109]
	v_mul_f64 v[34:35], v[34:35], v[112:113]
	v_mul_f64 v[129:130], v[46:47], v[102:103]
	v_mul_f64 v[46:47], v[46:47], v[100:101]
	s_waitcnt lgkmcnt(0)
	v_mul_f64 v[131:132], v[42:43], v[106:107]
	v_mul_f64 v[42:43], v[42:43], v[104:105]
	v_fma_f64 v[108:109], v[36:37], v[108:109], v[117:118]
	v_fma_f64 v[112:113], v[32:33], v[112:113], v[123:124]
	v_mul_f64 v[117:118], v[54:55], v[94:95]
	v_mul_f64 v[54:55], v[54:55], v[92:93]
	;; [unrolled: 1-line block ×4, first 2 shown]
	v_fma_f64 v[36:37], v[36:37], v[110:111], -v[38:39]
	v_fma_f64 v[32:33], v[32:33], v[114:115], -v[34:35]
	v_fma_f64 v[38:39], v[44:45], v[100:101], v[129:130]
	v_add_f64 v[34:35], v[108:109], v[112:113]
	v_fma_f64 v[100:101], v[44:45], v[102:103], -v[46:47]
	v_fma_f64 v[102:103], v[40:41], v[104:105], v[131:132]
	v_fma_f64 v[40:41], v[40:41], v[106:107], -v[42:43]
	v_add_f64 v[42:43], v[96:97], v[108:109]
	v_fma_f64 v[104:105], v[52:53], v[92:93], v[117:118]
	v_fma_f64 v[94:95], v[52:53], v[94:95], -v[54:55]
	v_add_f64 v[46:47], v[36:37], -v[32:33]
	v_fma_f64 v[34:35], v[34:35], -0.5, v[96:97]
	v_fma_f64 v[96:97], v[48:49], v[80:81], v[123:124]
	v_add_f64 v[52:53], v[36:37], v[32:33]
	v_fma_f64 v[106:107], v[48:49], v[82:83], -v[50:51]
	v_add_f64 v[44:45], v[42:43], v[112:113]
	v_add_f64 v[42:43], v[38:39], v[102:103]
	;; [unrolled: 1-line block ×3, first 2 shown]
	s_mov_b32 s0, 0xe8584caa
	s_mov_b32 s1, 0xbfebb67a
	;; [unrolled: 1-line block ×4, first 2 shown]
	v_fma_f64 v[48:49], v[46:47], s[0:1], v[34:35]
	v_fma_f64 v[54:55], v[52:53], -0.5, v[98:99]
	v_add_f64 v[80:81], v[108:109], -v[112:113]
	v_add_f64 v[82:83], v[88:89], v[38:39]
	v_fma_f64 v[42:43], v[42:43], -0.5, v[88:89]
	v_add_f64 v[92:93], v[100:101], -v[40:41]
	v_fma_f64 v[52:53], v[46:47], s[2:3], v[34:35]
	v_add_f64 v[46:47], v[36:37], v[32:33]
	v_add_f64 v[32:33], v[100:101], v[40:41]
	;; [unrolled: 1-line block ×4, first 2 shown]
	v_fma_f64 v[50:51], v[80:81], s[2:3], v[54:55]
	v_fma_f64 v[54:55], v[80:81], s[0:1], v[54:55]
	v_add_f64 v[80:81], v[82:83], v[102:103]
	v_fma_f64 v[88:89], v[92:93], s[0:1], v[42:43]
	v_fma_f64 v[92:93], v[92:93], s[2:3], v[42:43]
	v_add_f64 v[42:43], v[90:91], v[100:101]
	v_fma_f64 v[32:33], v[32:33], -0.5, v[90:91]
	v_add_f64 v[38:39], v[38:39], -v[102:103]
	v_add_f64 v[98:99], v[104:105], v[84:85]
	v_fma_f64 v[34:35], v[34:35], -0.5, v[84:85]
	v_add_f64 v[84:85], v[94:95], -v[106:107]
	;; [unrolled: 3-line block ×3, first 2 shown]
	v_add_f64 v[82:83], v[42:43], v[40:41]
	v_fma_f64 v[90:91], v[38:39], s[2:3], v[32:33]
	v_fma_f64 v[94:95], v[38:39], s[0:1], v[32:33]
	v_add_f64 v[32:33], v[98:99], v[96:97]
	v_fma_f64 v[36:37], v[84:85], s[0:1], v[34:35]
	v_fma_f64 v[40:41], v[84:85], s[2:3], v[34:35]
	;; [unrolled: 3-line block ×3, first 2 shown]
	s_waitcnt lgkmcnt(0)
	; wave barrier
	ds_write_b128 v125, v[44:47]
	ds_write_b128 v125, v[48:51] offset:128
	ds_write_b128 v125, v[52:55] offset:256
	ds_write_b128 v127, v[80:83]
	ds_write_b128 v127, v[88:91] offset:128
	ds_write_b128 v127, v[92:95] offset:256
	s_and_saveexec_b64 s[0:1], vcc
	s_cbranch_execz .LBB0_13
; %bb.12:
	v_mov_b32_e32 v44, 0x380
	v_lshl_or_b32 v44, v122, 4, v44
	v_add_u32_e32 v44, v121, v44
	ds_write_b128 v128, v[32:35] offset:768
	ds_write_b128 v44, v[36:39]
	ds_write_b128 v128, v[40:43] offset:1024
.LBB0_13:
	s_or_b64 exec, exec, s[0:1]
	s_waitcnt lgkmcnt(0)
	; wave barrier
	s_waitcnt lgkmcnt(0)
	ds_read_b128 v[48:51], v120
	ds_read_b128 v[44:47], v120 offset:144
	ds_read_b128 v[84:87], v120 offset:384
	;; [unrolled: 1-line block ×5, first 2 shown]
	v_add_u32_e32 v92, 0x90, v120
	s_and_saveexec_b64 s[0:1], vcc
	s_cbranch_execz .LBB0_15
; %bb.14:
	ds_read_b128 v[32:35], v126 offset:288
	ds_read_b128 v[36:39], v120 offset:672
	;; [unrolled: 1-line block ×3, first 2 shown]
.LBB0_15:
	s_or_b64 exec, exec, s[0:1]
	s_waitcnt lgkmcnt(3)
	v_mul_f64 v[93:94], v[70:71], v[86:87]
	s_waitcnt lgkmcnt(1)
	v_mul_f64 v[95:96], v[66:67], v[90:91]
	v_mul_f64 v[70:71], v[70:71], v[84:85]
	;; [unrolled: 1-line block ×5, first 2 shown]
	s_mov_b32 s0, 0xe8584caa
	s_mov_b32 s1, 0xbfebb67a
	v_fma_f64 v[84:85], v[68:69], v[84:85], v[93:94]
	v_fma_f64 v[88:89], v[64:65], v[88:89], v[95:96]
	s_waitcnt lgkmcnt(0)
	v_mul_f64 v[93:94], v[74:75], v[82:83]
	v_mul_f64 v[74:75], v[74:75], v[80:81]
	v_fma_f64 v[68:69], v[68:69], v[86:87], -v[70:71]
	v_fma_f64 v[66:67], v[64:65], v[90:91], -v[66:67]
	v_fma_f64 v[70:71], v[76:77], v[52:53], v[97:98]
	v_fma_f64 v[54:55], v[76:77], v[54:55], -v[78:79]
	v_add_f64 v[52:53], v[48:49], v[84:85]
	v_add_f64 v[64:65], v[84:85], v[88:89]
	v_fma_f64 v[76:77], v[72:73], v[80:81], v[93:94]
	v_fma_f64 v[74:75], v[72:73], v[82:83], -v[74:75]
	v_add_f64 v[82:83], v[84:85], -v[88:89]
	v_add_f64 v[78:79], v[68:69], v[66:67]
	v_add_f64 v[72:73], v[68:69], -v[66:67]
	v_add_f64 v[68:69], v[50:51], v[68:69]
	s_mov_b32 s2, s0
	v_fma_f64 v[64:65], v[64:65], -0.5, v[48:49]
	v_add_f64 v[80:81], v[70:71], v[76:77]
	v_add_f64 v[84:85], v[54:55], v[74:75]
	;; [unrolled: 1-line block ×3, first 2 shown]
	v_fma_f64 v[78:79], v[78:79], -0.5, v[50:51]
	v_add_f64 v[88:89], v[46:47], v[54:55]
	v_add_f64 v[86:87], v[54:55], -v[74:75]
	v_add_f64 v[90:91], v[70:71], -v[76:77]
	v_fma_f64 v[52:53], v[72:73], s[0:1], v[64:65]
	v_fma_f64 v[64:65], v[72:73], s[2:3], v[64:65]
	v_add_f64 v[72:73], v[44:45], v[70:71]
	v_fma_f64 v[80:81], v[80:81], -0.5, v[44:45]
	v_fma_f64 v[84:85], v[84:85], -0.5, v[46:47]
	v_add_f64 v[50:51], v[68:69], v[66:67]
	v_fma_f64 v[54:55], v[82:83], s[2:3], v[78:79]
	v_fma_f64 v[66:67], v[82:83], s[0:1], v[78:79]
	v_add_f64 v[46:47], v[88:89], v[74:75]
	v_add_f64 v[44:45], v[72:73], v[76:77]
	v_fma_f64 v[68:69], v[86:87], s[0:1], v[80:81]
	v_fma_f64 v[70:71], v[90:91], s[2:3], v[84:85]
	;; [unrolled: 1-line block ×4, first 2 shown]
	ds_write_b128 v120, v[48:51]
	ds_write_b128 v126, v[52:55] offset:384
	ds_write_b128 v126, v[64:67] offset:768
	;; [unrolled: 1-line block ×5, first 2 shown]
	s_and_saveexec_b64 s[4:5], vcc
	s_cbranch_execz .LBB0_17
; %bb.16:
	v_mul_f64 v[44:45], v[62:63], v[36:37]
	v_mul_f64 v[46:47], v[58:59], v[40:41]
	;; [unrolled: 1-line block ×4, first 2 shown]
	v_fma_f64 v[38:39], v[60:61], v[38:39], -v[44:45]
	v_fma_f64 v[42:43], v[56:57], v[42:43], -v[46:47]
	v_fma_f64 v[36:37], v[60:61], v[36:37], v[48:49]
	v_fma_f64 v[40:41], v[56:57], v[40:41], v[50:51]
	v_add_f64 v[50:51], v[38:39], v[34:35]
	v_add_f64 v[44:45], v[38:39], v[42:43]
	v_add_f64 v[52:53], v[38:39], -v[42:43]
	v_add_f64 v[46:47], v[36:37], v[40:41]
	v_add_f64 v[48:49], v[36:37], -v[40:41]
	v_add_f64 v[36:37], v[36:37], v[32:33]
	v_fma_f64 v[44:45], v[44:45], -0.5, v[34:35]
	v_add_f64 v[34:35], v[42:43], v[50:51]
	v_fma_f64 v[46:47], v[46:47], -0.5, v[32:33]
	v_add_f64 v[32:33], v[36:37], v[40:41]
	v_fma_f64 v[42:43], v[48:49], s[2:3], v[44:45]
	v_fma_f64 v[38:39], v[48:49], s[0:1], v[44:45]
	;; [unrolled: 1-line block ×4, first 2 shown]
	ds_write_b128 v126, v[32:35] offset:288
	ds_write_b128 v126, v[40:43] offset:672
	;; [unrolled: 1-line block ×3, first 2 shown]
.LBB0_17:
	s_or_b64 exec, exec, s[4:5]
	s_waitcnt lgkmcnt(0)
	; wave barrier
	s_waitcnt lgkmcnt(0)
	ds_read_b128 v[32:35], v120
	ds_read_b128 v[36:39], v120 offset:144
	v_mad_u64_u32 v[42:43], s[0:1], s10, v116, 0
	v_mad_u64_u32 v[44:45], s[2:3], s8, v119, 0
	s_waitcnt lgkmcnt(1)
	v_mul_f64 v[40:41], v[30:31], v[34:35]
	v_mul_f64 v[30:31], v[30:31], v[32:33]
	s_mov_b32 s0, 0x1c71c71c
	s_mov_b32 s1, 0x3f8c71c7
	v_fma_f64 v[32:33], v[28:29], v[32:33], v[40:41]
	v_fma_f64 v[30:31], v[28:29], v[34:35], -v[30:31]
	v_mad_u64_u32 v[28:29], s[2:3], s11, v116, v[43:44]
	v_mov_b32_e32 v29, v45
	v_mov_b32_e32 v40, s7
	;; [unrolled: 1-line block ×3, first 2 shown]
	v_mad_u64_u32 v[34:35], s[2:3], s9, v119, v[29:30]
	v_mul_f64 v[28:29], v[32:33], s[0:1]
	v_mul_f64 v[30:31], v[30:31], s[0:1]
	v_mov_b32_e32 v45, v34
	s_waitcnt lgkmcnt(0)
	v_mul_f64 v[34:35], v[26:27], v[38:39]
	v_mul_f64 v[26:27], v[26:27], v[36:37]
	v_lshlrev_b64 v[32:33], 4, v[42:43]
	s_mul_i32 s2, s9, 0x90
	v_add_co_u32_e32 v41, vcc, s6, v32
	v_addc_co_u32_e32 v42, vcc, v40, v33, vcc
	v_fma_f64 v[34:35], v[24:25], v[36:37], v[34:35]
	v_fma_f64 v[36:37], v[24:25], v[38:39], -v[26:27]
	ds_read_b128 v[24:27], v126 offset:288
	v_lshlrev_b64 v[32:33], 4, v[44:45]
	s_mul_hi_u32 s3, s8, 0x90
	v_add_co_u32_e32 v40, vcc, v41, v32
	v_addc_co_u32_e32 v41, vcc, v42, v33, vcc
	global_store_dwordx4 v[40:41], v[28:31], off
	s_add_i32 s2, s3, s2
	v_mul_f64 v[28:29], v[34:35], s[0:1]
	ds_read_b128 v[32:35], v120 offset:1008
	s_waitcnt lgkmcnt(1)
	v_mul_f64 v[42:43], v[6:7], v[26:27]
	v_mul_f64 v[6:7], v[6:7], v[24:25]
	;; [unrolled: 1-line block ×3, first 2 shown]
	ds_read_b128 v[36:39], v120 offset:432
	s_mul_i32 s3, s8, 0x90
	v_mov_b32_e32 v44, s2
	v_add_co_u32_e32 v40, vcc, s3, v40
	v_fma_f64 v[24:25], v[4:5], v[24:25], v[42:43]
	v_fma_f64 v[26:27], v[4:5], v[26:27], -v[6:7]
	ds_read_b128 v[4:7], v120 offset:576
	s_waitcnt lgkmcnt(1)
	v_mul_f64 v[42:43], v[2:3], v[38:39]
	v_mul_f64 v[2:3], v[2:3], v[36:37]
	v_addc_co_u32_e32 v41, vcc, v41, v44, vcc
	global_store_dwordx4 v[40:41], v[28:31], off
	v_mul_f64 v[24:25], v[24:25], s[0:1]
	v_mul_f64 v[26:27], v[26:27], s[0:1]
	s_waitcnt lgkmcnt(0)
	v_mul_f64 v[30:31], v[14:15], v[6:7]
	v_fma_f64 v[28:29], v[0:1], v[36:37], v[42:43]
	v_fma_f64 v[2:3], v[0:1], v[38:39], -v[2:3]
	v_mul_f64 v[14:15], v[14:15], v[4:5]
	v_add_co_u32_e32 v36, vcc, s3, v40
	v_addc_co_u32_e32 v37, vcc, v41, v44, vcc
	global_store_dwordx4 v[36:37], v[24:27], off
	ds_read_b128 v[24:27], v120 offset:720
	v_mul_f64 v[0:1], v[28:29], s[0:1]
	v_mul_f64 v[2:3], v[2:3], s[0:1]
	v_fma_f64 v[28:29], v[12:13], v[4:5], v[30:31]
	v_fma_f64 v[12:13], v[12:13], v[6:7], -v[14:15]
	ds_read_b128 v[4:7], v120 offset:864
	s_waitcnt lgkmcnt(1)
	v_mul_f64 v[14:15], v[10:11], v[26:27]
	v_mul_f64 v[10:11], v[10:11], v[24:25]
	v_mov_b32_e32 v38, s2
	v_add_co_u32_e32 v30, vcc, s3, v36
	v_addc_co_u32_e32 v31, vcc, v37, v38, vcc
	global_store_dwordx4 v[30:31], v[0:3], off
	s_nop 0
	v_mul_f64 v[0:1], v[28:29], s[0:1]
	v_mul_f64 v[2:3], v[12:13], s[0:1]
	v_fma_f64 v[12:13], v[8:9], v[24:25], v[14:15]
	v_fma_f64 v[8:9], v[8:9], v[26:27], -v[10:11]
	s_waitcnt lgkmcnt(0)
	v_mul_f64 v[14:15], v[18:19], v[6:7]
	v_mul_f64 v[18:19], v[18:19], v[4:5]
	;; [unrolled: 1-line block ×4, first 2 shown]
	v_mov_b32_e32 v28, s2
	v_add_co_u32_e32 v10, vcc, s3, v30
	v_addc_co_u32_e32 v11, vcc, v31, v28, vcc
	global_store_dwordx4 v[10:11], v[0:3], off
	v_fma_f64 v[4:5], v[16:17], v[4:5], v[14:15]
	v_mul_f64 v[0:1], v[12:13], s[0:1]
	v_mul_f64 v[2:3], v[8:9], s[0:1]
	v_fma_f64 v[6:7], v[16:17], v[6:7], -v[18:19]
	v_fma_f64 v[8:9], v[20:21], v[32:33], v[24:25]
	v_fma_f64 v[12:13], v[20:21], v[34:35], -v[22:23]
	v_mov_b32_e32 v26, s2
	v_add_co_u32_e32 v10, vcc, s3, v10
	v_addc_co_u32_e32 v11, vcc, v11, v26, vcc
	global_store_dwordx4 v[10:11], v[0:3], off
	v_mov_b32_e32 v14, s2
	v_mul_f64 v[0:1], v[4:5], s[0:1]
	v_mul_f64 v[2:3], v[6:7], s[0:1]
	;; [unrolled: 1-line block ×4, first 2 shown]
	v_add_co_u32_e32 v8, vcc, s3, v10
	v_addc_co_u32_e32 v9, vcc, v11, v14, vcc
	global_store_dwordx4 v[8:9], v[0:3], off
	s_nop 0
	v_mov_b32_e32 v1, s2
	v_add_co_u32_e32 v0, vcc, s3, v8
	v_addc_co_u32_e32 v1, vcc, v9, v1, vcc
	global_store_dwordx4 v[0:1], v[4:7], off
.LBB0_18:
	s_endpgm
	.section	.rodata,"a",@progbits
	.p2align	6, 0x0
	.amdhsa_kernel bluestein_single_back_len72_dim1_dp_op_CI_CI
		.amdhsa_group_segment_fixed_size 8064
		.amdhsa_private_segment_fixed_size 0
		.amdhsa_kernarg_size 104
		.amdhsa_user_sgpr_count 6
		.amdhsa_user_sgpr_private_segment_buffer 1
		.amdhsa_user_sgpr_dispatch_ptr 0
		.amdhsa_user_sgpr_queue_ptr 0
		.amdhsa_user_sgpr_kernarg_segment_ptr 1
		.amdhsa_user_sgpr_dispatch_id 0
		.amdhsa_user_sgpr_flat_scratch_init 0
		.amdhsa_user_sgpr_private_segment_size 0
		.amdhsa_uses_dynamic_stack 0
		.amdhsa_system_sgpr_private_segment_wavefront_offset 0
		.amdhsa_system_sgpr_workgroup_id_x 1
		.amdhsa_system_sgpr_workgroup_id_y 0
		.amdhsa_system_sgpr_workgroup_id_z 0
		.amdhsa_system_sgpr_workgroup_info 0
		.amdhsa_system_vgpr_workitem_id 0
		.amdhsa_next_free_vgpr 175
		.amdhsa_next_free_sgpr 20
		.amdhsa_reserve_vcc 1
		.amdhsa_reserve_flat_scratch 0
		.amdhsa_float_round_mode_32 0
		.amdhsa_float_round_mode_16_64 0
		.amdhsa_float_denorm_mode_32 3
		.amdhsa_float_denorm_mode_16_64 3
		.amdhsa_dx10_clamp 1
		.amdhsa_ieee_mode 1
		.amdhsa_fp16_overflow 0
		.amdhsa_exception_fp_ieee_invalid_op 0
		.amdhsa_exception_fp_denorm_src 0
		.amdhsa_exception_fp_ieee_div_zero 0
		.amdhsa_exception_fp_ieee_overflow 0
		.amdhsa_exception_fp_ieee_underflow 0
		.amdhsa_exception_fp_ieee_inexact 0
		.amdhsa_exception_int_div_zero 0
	.end_amdhsa_kernel
	.text
.Lfunc_end0:
	.size	bluestein_single_back_len72_dim1_dp_op_CI_CI, .Lfunc_end0-bluestein_single_back_len72_dim1_dp_op_CI_CI
                                        ; -- End function
	.section	.AMDGPU.csdata,"",@progbits
; Kernel info:
; codeLenInByte = 6644
; NumSgprs: 24
; NumVgprs: 175
; ScratchSize: 0
; MemoryBound: 0
; FloatMode: 240
; IeeeMode: 1
; LDSByteSize: 8064 bytes/workgroup (compile time only)
; SGPRBlocks: 2
; VGPRBlocks: 43
; NumSGPRsForWavesPerEU: 24
; NumVGPRsForWavesPerEU: 175
; Occupancy: 1
; WaveLimiterHint : 1
; COMPUTE_PGM_RSRC2:SCRATCH_EN: 0
; COMPUTE_PGM_RSRC2:USER_SGPR: 6
; COMPUTE_PGM_RSRC2:TRAP_HANDLER: 0
; COMPUTE_PGM_RSRC2:TGID_X_EN: 1
; COMPUTE_PGM_RSRC2:TGID_Y_EN: 0
; COMPUTE_PGM_RSRC2:TGID_Z_EN: 0
; COMPUTE_PGM_RSRC2:TIDIG_COMP_CNT: 0
	.type	__hip_cuid_9f1f21cdecb0da0c,@object ; @__hip_cuid_9f1f21cdecb0da0c
	.section	.bss,"aw",@nobits
	.globl	__hip_cuid_9f1f21cdecb0da0c
__hip_cuid_9f1f21cdecb0da0c:
	.byte	0                               ; 0x0
	.size	__hip_cuid_9f1f21cdecb0da0c, 1

	.ident	"AMD clang version 19.0.0git (https://github.com/RadeonOpenCompute/llvm-project roc-6.4.0 25133 c7fe45cf4b819c5991fe208aaa96edf142730f1d)"
	.section	".note.GNU-stack","",@progbits
	.addrsig
	.addrsig_sym __hip_cuid_9f1f21cdecb0da0c
	.amdgpu_metadata
---
amdhsa.kernels:
  - .args:
      - .actual_access:  read_only
        .address_space:  global
        .offset:         0
        .size:           8
        .value_kind:     global_buffer
      - .actual_access:  read_only
        .address_space:  global
        .offset:         8
        .size:           8
        .value_kind:     global_buffer
      - .actual_access:  read_only
        .address_space:  global
        .offset:         16
        .size:           8
        .value_kind:     global_buffer
      - .actual_access:  read_only
        .address_space:  global
        .offset:         24
        .size:           8
        .value_kind:     global_buffer
      - .actual_access:  read_only
        .address_space:  global
        .offset:         32
        .size:           8
        .value_kind:     global_buffer
      - .offset:         40
        .size:           8
        .value_kind:     by_value
      - .address_space:  global
        .offset:         48
        .size:           8
        .value_kind:     global_buffer
      - .address_space:  global
        .offset:         56
        .size:           8
        .value_kind:     global_buffer
      - .address_space:  global
        .offset:         64
        .size:           8
        .value_kind:     global_buffer
      - .address_space:  global
        .offset:         72
        .size:           8
        .value_kind:     global_buffer
      - .offset:         80
        .size:           4
        .value_kind:     by_value
      - .address_space:  global
        .offset:         88
        .size:           8
        .value_kind:     global_buffer
      - .address_space:  global
        .offset:         96
        .size:           8
        .value_kind:     global_buffer
    .group_segment_fixed_size: 8064
    .kernarg_segment_align: 8
    .kernarg_segment_size: 104
    .language:       OpenCL C
    .language_version:
      - 2
      - 0
    .max_flat_workgroup_size: 63
    .name:           bluestein_single_back_len72_dim1_dp_op_CI_CI
    .private_segment_fixed_size: 0
    .sgpr_count:     24
    .sgpr_spill_count: 0
    .symbol:         bluestein_single_back_len72_dim1_dp_op_CI_CI.kd
    .uniform_work_group_size: 1
    .uses_dynamic_stack: false
    .vgpr_count:     175
    .vgpr_spill_count: 0
    .wavefront_size: 64
amdhsa.target:   amdgcn-amd-amdhsa--gfx906
amdhsa.version:
  - 1
  - 2
...

	.end_amdgpu_metadata
